;; amdgpu-corpus repo=ROCm/rocFFT kind=compiled arch=gfx1030 opt=O3
	.text
	.amdgcn_target "amdgcn-amd-amdhsa--gfx1030"
	.amdhsa_code_object_version 6
	.protected	fft_rtc_back_len1100_factors_2_2_11_5_5_wgs_110_tpt_110_half_ip_CI_sbrr_dirReg ; -- Begin function fft_rtc_back_len1100_factors_2_2_11_5_5_wgs_110_tpt_110_half_ip_CI_sbrr_dirReg
	.globl	fft_rtc_back_len1100_factors_2_2_11_5_5_wgs_110_tpt_110_half_ip_CI_sbrr_dirReg
	.p2align	8
	.type	fft_rtc_back_len1100_factors_2_2_11_5_5_wgs_110_tpt_110_half_ip_CI_sbrr_dirReg,@function
fft_rtc_back_len1100_factors_2_2_11_5_5_wgs_110_tpt_110_half_ip_CI_sbrr_dirReg: ; @fft_rtc_back_len1100_factors_2_2_11_5_5_wgs_110_tpt_110_half_ip_CI_sbrr_dirReg
; %bb.0:
	s_clause 0x2
	s_load_dwordx2 s[14:15], s[4:5], 0x18
	s_load_dwordx4 s[8:11], s[4:5], 0x0
	s_load_dwordx2 s[12:13], s[4:5], 0x50
	v_mul_u32_u24_e32 v1, 0x254, v0
	v_mov_b32_e32 v3, 0
	v_add_nc_u32_sdwa v5, s6, v1 dst_sel:DWORD dst_unused:UNUSED_PAD src0_sel:DWORD src1_sel:WORD_1
	v_mov_b32_e32 v1, 0
	v_mov_b32_e32 v6, v3
	v_mov_b32_e32 v2, 0
	s_waitcnt lgkmcnt(0)
	s_load_dwordx2 s[2:3], s[14:15], 0x0
	v_cmp_lt_u64_e64 s0, s[10:11], 2
	s_and_b32 vcc_lo, exec_lo, s0
	s_cbranch_vccnz .LBB0_8
; %bb.1:
	s_load_dwordx2 s[0:1], s[4:5], 0x10
	v_mov_b32_e32 v1, 0
	s_add_u32 s6, s14, 8
	v_mov_b32_e32 v2, 0
	s_addc_u32 s7, s15, 0
	s_mov_b64 s[18:19], 1
	s_waitcnt lgkmcnt(0)
	s_add_u32 s16, s0, 8
	s_addc_u32 s17, s1, 0
.LBB0_2:                                ; =>This Inner Loop Header: Depth=1
	s_load_dwordx2 s[20:21], s[16:17], 0x0
                                        ; implicit-def: $vgpr7_vgpr8
	s_mov_b32 s0, exec_lo
	s_waitcnt lgkmcnt(0)
	v_or_b32_e32 v4, s21, v6
	v_cmpx_ne_u64_e32 0, v[3:4]
	s_xor_b32 s1, exec_lo, s0
	s_cbranch_execz .LBB0_4
; %bb.3:                                ;   in Loop: Header=BB0_2 Depth=1
	v_cvt_f32_u32_e32 v4, s20
	v_cvt_f32_u32_e32 v7, s21
	s_sub_u32 s0, 0, s20
	s_subb_u32 s22, 0, s21
	v_fmac_f32_e32 v4, 0x4f800000, v7
	v_rcp_f32_e32 v4, v4
	v_mul_f32_e32 v4, 0x5f7ffffc, v4
	v_mul_f32_e32 v7, 0x2f800000, v4
	v_trunc_f32_e32 v7, v7
	v_fmac_f32_e32 v4, 0xcf800000, v7
	v_cvt_u32_f32_e32 v7, v7
	v_cvt_u32_f32_e32 v4, v4
	v_mul_lo_u32 v8, s0, v7
	v_mul_hi_u32 v9, s0, v4
	v_mul_lo_u32 v10, s22, v4
	v_add_nc_u32_e32 v8, v9, v8
	v_mul_lo_u32 v9, s0, v4
	v_add_nc_u32_e32 v8, v8, v10
	v_mul_hi_u32 v10, v4, v9
	v_mul_lo_u32 v11, v4, v8
	v_mul_hi_u32 v12, v4, v8
	v_mul_hi_u32 v13, v7, v9
	v_mul_lo_u32 v9, v7, v9
	v_mul_hi_u32 v14, v7, v8
	v_mul_lo_u32 v8, v7, v8
	v_add_co_u32 v10, vcc_lo, v10, v11
	v_add_co_ci_u32_e32 v11, vcc_lo, 0, v12, vcc_lo
	v_add_co_u32 v9, vcc_lo, v10, v9
	v_add_co_ci_u32_e32 v9, vcc_lo, v11, v13, vcc_lo
	v_add_co_ci_u32_e32 v10, vcc_lo, 0, v14, vcc_lo
	v_add_co_u32 v8, vcc_lo, v9, v8
	v_add_co_ci_u32_e32 v9, vcc_lo, 0, v10, vcc_lo
	v_add_co_u32 v4, vcc_lo, v4, v8
	v_add_co_ci_u32_e32 v7, vcc_lo, v7, v9, vcc_lo
	v_mul_hi_u32 v8, s0, v4
	v_mul_lo_u32 v10, s22, v4
	v_mul_lo_u32 v9, s0, v7
	v_add_nc_u32_e32 v8, v8, v9
	v_mul_lo_u32 v9, s0, v4
	v_add_nc_u32_e32 v8, v8, v10
	v_mul_hi_u32 v10, v4, v9
	v_mul_lo_u32 v11, v4, v8
	v_mul_hi_u32 v12, v4, v8
	v_mul_hi_u32 v13, v7, v9
	v_mul_lo_u32 v9, v7, v9
	v_mul_hi_u32 v14, v7, v8
	v_mul_lo_u32 v8, v7, v8
	v_add_co_u32 v10, vcc_lo, v10, v11
	v_add_co_ci_u32_e32 v11, vcc_lo, 0, v12, vcc_lo
	v_add_co_u32 v9, vcc_lo, v10, v9
	v_add_co_ci_u32_e32 v9, vcc_lo, v11, v13, vcc_lo
	v_add_co_ci_u32_e32 v10, vcc_lo, 0, v14, vcc_lo
	v_add_co_u32 v8, vcc_lo, v9, v8
	v_add_co_ci_u32_e32 v9, vcc_lo, 0, v10, vcc_lo
	v_add_co_u32 v4, vcc_lo, v4, v8
	v_add_co_ci_u32_e32 v11, vcc_lo, v7, v9, vcc_lo
	v_mul_hi_u32 v13, v5, v4
	v_mad_u64_u32 v[9:10], null, v6, v4, 0
	v_mad_u64_u32 v[7:8], null, v5, v11, 0
	;; [unrolled: 1-line block ×3, first 2 shown]
	v_add_co_u32 v4, vcc_lo, v13, v7
	v_add_co_ci_u32_e32 v7, vcc_lo, 0, v8, vcc_lo
	v_add_co_u32 v4, vcc_lo, v4, v9
	v_add_co_ci_u32_e32 v4, vcc_lo, v7, v10, vcc_lo
	v_add_co_ci_u32_e32 v7, vcc_lo, 0, v12, vcc_lo
	v_add_co_u32 v4, vcc_lo, v4, v11
	v_add_co_ci_u32_e32 v9, vcc_lo, 0, v7, vcc_lo
	v_mul_lo_u32 v10, s21, v4
	v_mad_u64_u32 v[7:8], null, s20, v4, 0
	v_mul_lo_u32 v11, s20, v9
	v_sub_co_u32 v7, vcc_lo, v5, v7
	v_add3_u32 v8, v8, v11, v10
	v_sub_nc_u32_e32 v10, v6, v8
	v_subrev_co_ci_u32_e64 v10, s0, s21, v10, vcc_lo
	v_add_co_u32 v11, s0, v4, 2
	v_add_co_ci_u32_e64 v12, s0, 0, v9, s0
	v_sub_co_u32 v13, s0, v7, s20
	v_sub_co_ci_u32_e32 v8, vcc_lo, v6, v8, vcc_lo
	v_subrev_co_ci_u32_e64 v10, s0, 0, v10, s0
	v_cmp_le_u32_e32 vcc_lo, s20, v13
	v_cmp_eq_u32_e64 s0, s21, v8
	v_cndmask_b32_e64 v13, 0, -1, vcc_lo
	v_cmp_le_u32_e32 vcc_lo, s21, v10
	v_cndmask_b32_e64 v14, 0, -1, vcc_lo
	v_cmp_le_u32_e32 vcc_lo, s20, v7
	;; [unrolled: 2-line block ×3, first 2 shown]
	v_cndmask_b32_e64 v15, 0, -1, vcc_lo
	v_cmp_eq_u32_e32 vcc_lo, s21, v10
	v_cndmask_b32_e64 v7, v15, v7, s0
	v_cndmask_b32_e32 v10, v14, v13, vcc_lo
	v_add_co_u32 v13, vcc_lo, v4, 1
	v_add_co_ci_u32_e32 v14, vcc_lo, 0, v9, vcc_lo
	v_cmp_ne_u32_e32 vcc_lo, 0, v10
	v_cndmask_b32_e32 v8, v14, v12, vcc_lo
	v_cndmask_b32_e32 v10, v13, v11, vcc_lo
	v_cmp_ne_u32_e32 vcc_lo, 0, v7
	v_cndmask_b32_e32 v8, v9, v8, vcc_lo
	v_cndmask_b32_e32 v7, v4, v10, vcc_lo
.LBB0_4:                                ;   in Loop: Header=BB0_2 Depth=1
	s_andn2_saveexec_b32 s0, s1
	s_cbranch_execz .LBB0_6
; %bb.5:                                ;   in Loop: Header=BB0_2 Depth=1
	v_cvt_f32_u32_e32 v4, s20
	s_sub_i32 s1, 0, s20
	v_rcp_iflag_f32_e32 v4, v4
	v_mul_f32_e32 v4, 0x4f7ffffe, v4
	v_cvt_u32_f32_e32 v4, v4
	v_mul_lo_u32 v7, s1, v4
	v_mul_hi_u32 v7, v4, v7
	v_add_nc_u32_e32 v4, v4, v7
	v_mul_hi_u32 v4, v5, v4
	v_mul_lo_u32 v7, v4, s20
	v_add_nc_u32_e32 v8, 1, v4
	v_sub_nc_u32_e32 v7, v5, v7
	v_subrev_nc_u32_e32 v9, s20, v7
	v_cmp_le_u32_e32 vcc_lo, s20, v7
	v_cndmask_b32_e32 v7, v7, v9, vcc_lo
	v_cndmask_b32_e32 v4, v4, v8, vcc_lo
	v_cmp_le_u32_e32 vcc_lo, s20, v7
	v_add_nc_u32_e32 v8, 1, v4
	v_cndmask_b32_e32 v7, v4, v8, vcc_lo
	v_mov_b32_e32 v8, v3
.LBB0_6:                                ;   in Loop: Header=BB0_2 Depth=1
	s_or_b32 exec_lo, exec_lo, s0
	s_load_dwordx2 s[0:1], s[6:7], 0x0
	v_mul_lo_u32 v4, v8, s20
	v_mul_lo_u32 v11, v7, s21
	v_mad_u64_u32 v[9:10], null, v7, s20, 0
	s_add_u32 s18, s18, 1
	s_addc_u32 s19, s19, 0
	s_add_u32 s6, s6, 8
	s_addc_u32 s7, s7, 0
	;; [unrolled: 2-line block ×3, first 2 shown]
	v_add3_u32 v4, v10, v11, v4
	v_sub_co_u32 v5, vcc_lo, v5, v9
	v_sub_co_ci_u32_e32 v4, vcc_lo, v6, v4, vcc_lo
	s_waitcnt lgkmcnt(0)
	v_mul_lo_u32 v6, s1, v5
	v_mul_lo_u32 v4, s0, v4
	v_mad_u64_u32 v[1:2], null, s0, v5, v[1:2]
	v_cmp_ge_u64_e64 s0, s[18:19], s[10:11]
	s_and_b32 vcc_lo, exec_lo, s0
	v_add3_u32 v2, v6, v2, v4
	s_cbranch_vccnz .LBB0_9
; %bb.7:                                ;   in Loop: Header=BB0_2 Depth=1
	v_mov_b32_e32 v5, v7
	v_mov_b32_e32 v6, v8
	s_branch .LBB0_2
.LBB0_8:
	v_mov_b32_e32 v8, v6
	v_mov_b32_e32 v7, v5
.LBB0_9:
	s_lshl_b64 s[0:1], s[10:11], 3
	v_mul_hi_u32 v3, 0x253c826, v0
	s_add_u32 s0, s14, s0
	s_addc_u32 s1, s15, s1
	s_load_dwordx2 s[4:5], s[4:5], 0x20
	s_load_dwordx2 s[0:1], s[0:1], 0x0
                                        ; implicit-def: $vgpr31
	v_mul_u32_u24_e32 v3, 0x6e, v3
	v_sub_nc_u32_e32 v25, v0, v3
	v_add_nc_u32_e32 v24, 0x6e, v25
	v_add_nc_u32_e32 v26, 0xdc, v25
	;; [unrolled: 1-line block ×3, first 2 shown]
	s_waitcnt lgkmcnt(0)
	v_cmp_gt_u64_e32 vcc_lo, s[4:5], v[7:8]
	v_mul_lo_u32 v3, s0, v8
	v_mul_lo_u32 v4, s1, v7
	v_mad_u64_u32 v[0:1], null, s0, v7, v[1:2]
	v_cmp_le_u64_e64 s0, s[4:5], v[7:8]
	v_add_nc_u32_e32 v2, 0x14a, v25
                                        ; implicit-def: $sgpr4
	v_add3_u32 v1, v4, v1, v3
                                        ; implicit-def: $vgpr4
                                        ; implicit-def: $vgpr3
	s_and_saveexec_b32 s1, s0
	s_xor_b32 s0, exec_lo, s1
; %bb.10:
	v_add_nc_u32_e32 v31, 0x6e, v25
	v_add_nc_u32_e32 v4, 0xdc, v25
	;; [unrolled: 1-line block ×4, first 2 shown]
	s_mov_b32 s4, 0
; %bb.11:
	s_or_saveexec_b32 s1, s0
	v_lshlrev_b64 v[8:9], 2, v[0:1]
	v_mov_b32_e32 v7, s4
	v_add_nc_u32_e32 v28, 0x294, v25
	v_add_nc_u32_e32 v29, 0x370, v25
	v_mov_b32_e32 v0, s4
	v_mov_b32_e32 v1, s4
	;; [unrolled: 1-line block ×4, first 2 shown]
                                        ; implicit-def: $vgpr10
                                        ; implicit-def: $vgpr11
                                        ; implicit-def: $vgpr12
                                        ; implicit-def: $vgpr13
                                        ; implicit-def: $vgpr14
	s_xor_b32 exec_lo, exec_lo, s1
	s_cbranch_execz .LBB0_13
; %bb.12:
	v_add_nc_u32_e32 v7, 0x226, v25
	v_mad_u64_u32 v[0:1], null, s2, v25, 0
	v_mad_u64_u32 v[5:6], null, s2, v24, 0
	;; [unrolled: 1-line block ×3, first 2 shown]
	v_add_nc_u32_e32 v21, 0x302, v25
	v_add_co_u32 v37, s0, s12, v8
	v_mad_u64_u32 v[10:11], null, s3, v25, v[1:2]
	v_mad_u64_u32 v[11:12], null, s2, v28, 0
	v_mov_b32_e32 v1, v4
	v_mov_b32_e32 v4, v6
	v_mad_u64_u32 v[16:17], null, s2, v21, 0
	v_add_co_ci_u32_e64 v38, s0, s13, v9, s0
	v_mad_u64_u32 v[13:14], null, s3, v24, v[4:5]
	v_mad_u64_u32 v[6:7], null, s3, v7, v[1:2]
	;; [unrolled: 1-line block ×3, first 2 shown]
	v_mov_b32_e32 v7, v12
	v_mov_b32_e32 v1, v10
	;; [unrolled: 1-line block ×4, first 2 shown]
	v_mad_u64_u32 v[12:13], null, s3, v28, v[7:8]
	v_mov_b32_e32 v7, v15
	v_lshlrev_b64 v[0:1], 2, v[0:1]
	v_lshlrev_b64 v[3:4], 2, v[3:4]
	;; [unrolled: 1-line block ×3, first 2 shown]
	v_mad_u64_u32 v[18:19], null, s3, v26, v[7:8]
	v_mad_u64_u32 v[19:20], null, s2, v2, 0
	v_mov_b32_e32 v7, v17
	v_lshlrev_b64 v[10:11], 2, v[11:12]
	v_add_co_u32 v0, s0, v37, v0
	v_mov_b32_e32 v15, v18
	v_mad_u64_u32 v[12:13], null, s3, v21, v[7:8]
	v_mov_b32_e32 v7, v20
	v_mad_u64_u32 v[21:22], null, s2, v29, 0
	v_add_nc_u32_e32 v18, 0x3de, v25
	v_add_co_ci_u32_e64 v1, s0, v38, v1, s0
	v_mad_u64_u32 v[30:31], null, s3, v2, v[7:8]
	v_mad_u64_u32 v[31:32], null, s2, v27, 0
	v_add_co_u32 v3, s0, v37, v3
	v_mov_b32_e32 v7, v22
	v_add_co_ci_u32_e64 v4, s0, v38, v4, s0
	v_add_co_u32 v5, s0, v37, v5
	v_lshlrev_b64 v[13:14], 2, v[14:15]
	v_mad_u64_u32 v[33:34], null, s2, v18, 0
	v_add_co_ci_u32_e64 v6, s0, v38, v6, s0
	v_mov_b32_e32 v17, v12
	v_add_co_u32 v10, s0, v37, v10
	v_mad_u64_u32 v[22:23], null, s3, v29, v[7:8]
	v_mov_b32_e32 v7, v32
	v_add_co_ci_u32_e64 v11, s0, v38, v11, s0
	v_add_co_u32 v35, s0, v37, v13
	v_lshlrev_b64 v[12:13], 2, v[16:17]
	v_add_co_ci_u32_e64 v36, s0, v38, v14, s0
	v_mad_u64_u32 v[14:15], null, s3, v27, v[7:8]
	v_mov_b32_e32 v7, v34
	v_mov_b32_e32 v20, v30
	v_add_co_u32 v15, s0, v37, v12
	v_add_co_ci_u32_e64 v16, s0, v38, v13, s0
	v_mad_u64_u32 v[17:18], null, s3, v18, v[7:8]
	v_lshlrev_b64 v[12:13], 2, v[19:20]
	v_mov_b32_e32 v32, v14
	v_lshlrev_b64 v[18:19], 2, v[21:22]
	v_add_co_u32 v20, s0, v37, v12
	v_mov_b32_e32 v34, v17
	v_add_co_ci_u32_e64 v21, s0, v38, v13, s0
	v_lshlrev_b64 v[12:13], 2, v[31:32]
	v_add_co_u32 v17, s0, v37, v18
	v_lshlrev_b64 v[22:23], 2, v[33:34]
	v_add_co_ci_u32_e64 v18, s0, v38, v19, s0
	v_add_co_u32 v30, s0, v37, v12
	v_add_co_ci_u32_e64 v31, s0, v38, v13, s0
	v_add_co_u32 v22, s0, v37, v22
	v_add_co_ci_u32_e64 v23, s0, v38, v23, s0
	s_clause 0x9
	global_load_dword v7, v[0:1], off
	global_load_dword v14, v[3:4], off
	;; [unrolled: 1-line block ×10, first 2 shown]
	v_mov_b32_e32 v3, v27
	v_mov_b32_e32 v4, v26
	;; [unrolled: 1-line block ×3, first 2 shown]
.LBB0_13:
	s_or_b32 exec_lo, exec_lo, s1
	s_waitcnt vmcnt(8)
	v_pk_add_f16 v14, v7, v14 neg_lo:[0,1] neg_hi:[0,1]
	v_lshrrev_b32_e32 v15, 16, v7
	v_and_b32_e32 v17, 1, v25
	s_waitcnt vmcnt(6)
	v_pk_add_f16 v13, v0, v13 neg_lo:[0,1] neg_hi:[0,1]
	s_waitcnt vmcnt(4)
	v_pk_add_f16 v12, v1, v12 neg_lo:[0,1] neg_hi:[0,1]
	v_lshrrev_b32_e32 v16, 16, v14
	v_fma_f16 v7, v7, 2.0, -v14
	s_waitcnt vmcnt(2)
	v_pk_add_f16 v11, v5, v11 neg_lo:[0,1] neg_hi:[0,1]
	s_waitcnt vmcnt(0)
	v_pk_add_f16 v10, v6, v10 neg_lo:[0,1] neg_hi:[0,1]
	v_lshl_add_u32 v22, v25, 3, 0
	v_fma_f16 v15, v15, 2.0, -v16
	v_lshl_add_u32 v32, v31, 3, 0
	v_pk_fma_f16 v0, v0, 2.0, v13 op_sel_hi:[1,0,1] neg_lo:[0,0,1] neg_hi:[0,0,1]
	v_lshl_add_u32 v33, v4, 3, 0
	v_pk_fma_f16 v1, v1, 2.0, v12 op_sel_hi:[1,0,1] neg_lo:[0,0,1] neg_hi:[0,0,1]
	v_lshlrev_b32_e32 v15, 16, v15
	v_lshl_add_u32 v16, v2, 3, 0
	v_pk_fma_f16 v5, v5, 2.0, v11 op_sel_hi:[1,0,1] neg_lo:[0,0,1] neg_hi:[0,0,1]
	v_lshl_add_u32 v34, v3, 3, 0
	v_pk_fma_f16 v6, v6, 2.0, v10 op_sel_hi:[1,0,1] neg_lo:[0,0,1] neg_hi:[0,0,1]
	v_or_b32_sdwa v7, v15, v7 dst_sel:DWORD dst_unused:UNUSED_PAD src0_sel:DWORD src1_sel:WORD_0
	v_lshlrev_b32_e32 v15, 2, v17
	v_cmp_gt_u32_e64 s0, 0x64, v25
                                        ; implicit-def: $vgpr49
                                        ; implicit-def: $vgpr48
	ds_write2_b32 v22, v7, v14 offset1:1
	ds_write2_b32 v32, v0, v13 offset1:1
	;; [unrolled: 1-line block ×5, first 2 shown]
	s_waitcnt lgkmcnt(0)
	s_barrier
	buffer_gl0_inv
	global_load_dword v12, v15, s[8:9]
	v_lshlrev_b32_e32 v10, 2, v25
	v_lshlrev_b32_e32 v0, 2, v4
	;; [unrolled: 1-line block ×5, first 2 shown]
	v_sub_nc_u32_e32 v5, v22, v10
	v_lshlrev_b32_e32 v11, 2, v31
	v_sub_nc_u32_e32 v7, v33, v0
	v_sub_nc_u32_e32 v4, v16, v4
	;; [unrolled: 1-line block ×3, first 2 shown]
	v_add_nc_u32_e32 v18, 0x800, v5
	v_sub_nc_u32_e32 v6, v32, v11
	v_add_nc_u32_e32 v19, 0xc00, v5
	ds_read_b32 v23, v5
	ds_read_b32 v20, v7
	;; [unrolled: 1-line block ×5, first 2 shown]
	ds_read_b32 v21, v5 offset:3960
	ds_read2_b32 v[4:5], v19 offset0:2 offset1:112
	v_lshlrev_b32_e32 v13, 1, v25
	ds_read2_b32 v[6:7], v18 offset0:38 offset1:148
	v_lshlrev_b32_e32 v14, 1, v31
	v_lshlrev_b32_e32 v2, 1, v2
	;; [unrolled: 1-line block ×3, first 2 shown]
	v_and_or_b32 v13, 0xfc, v13, v17
	v_and_or_b32 v15, 0x3fc, v15, v17
	;; [unrolled: 1-line block ×5, first 2 shown]
	v_lshl_add_u32 v37, v13, 2, 0
	v_lshl_add_u32 v43, v15, 2, 0
	;; [unrolled: 1-line block ×3, first 2 shown]
	v_sub_nc_u32_e32 v36, 0, v10
	v_lshl_add_u32 v2, v2, 2, 0
	v_lshl_add_u32 v3, v3, 2, 0
	s_waitcnt vmcnt(0) lgkmcnt(0)
	s_barrier
	buffer_gl0_inv
	v_pk_mul_f16 v13, v12, v21 op_sel:[0,1]
	v_pk_mul_f16 v14, v12, v5 op_sel:[0,1]
	;; [unrolled: 1-line block ×5, first 2 shown]
	v_pk_fma_f16 v19, v12, v21, v13 op_sel:[0,0,1] op_sel_hi:[1,1,0]
	v_pk_fma_f16 v13, v12, v21, v13 op_sel:[0,0,1] op_sel_hi:[1,0,0] neg_lo:[1,0,0] neg_hi:[1,0,0]
	v_pk_fma_f16 v21, v12, v5, v14 op_sel:[0,0,1] op_sel_hi:[1,1,0]
	v_pk_fma_f16 v5, v12, v5, v14 op_sel:[0,0,1] op_sel_hi:[1,0,0] neg_lo:[1,0,0] neg_hi:[1,0,0]
	;; [unrolled: 2-line block ×5, first 2 shown]
	v_bfi_b32 v12, 0xffff, v19, v13
	v_bfi_b32 v5, 0xffff, v21, v5
	;; [unrolled: 1-line block ×5, first 2 shown]
	v_pk_add_f16 v19, v16, v12 neg_lo:[0,1] neg_hi:[0,1]
	v_pk_add_f16 v15, v30, v5 neg_lo:[0,1] neg_hi:[0,1]
	;; [unrolled: 1-line block ×5, first 2 shown]
	v_pk_fma_f16 v18, v16, 2.0, v19 op_sel_hi:[1,0,1] neg_lo:[0,0,1] neg_hi:[0,0,1]
	v_pk_fma_f16 v14, v30, 2.0, v15 op_sel_hi:[1,0,1] neg_lo:[0,0,1] neg_hi:[0,0,1]
	;; [unrolled: 1-line block ×5, first 2 shown]
	v_lshrrev_b32_e32 v39, 16, v19
	v_lshrrev_b32_e32 v42, 16, v15
	;; [unrolled: 1-line block ×5, first 2 shown]
	ds_write2_b32 v37, v12, v13 offset1:2
	ds_write2_b32 v38, v20, v21 offset1:2
	;; [unrolled: 1-line block ×4, first 2 shown]
	v_lshrrev_b32_e32 v43, 16, v18
	v_lshrrev_b32_e32 v46, 16, v14
	;; [unrolled: 1-line block ×5, first 2 shown]
	v_add_nc_u32_e32 v30, v22, v36
	ds_write2_b32 v3, v18, v19 offset1:2
	s_waitcnt lgkmcnt(0)
	s_barrier
	buffer_gl0_inv
	s_and_saveexec_b32 s1, s0
	s_cbranch_execz .LBB0_15
; %bb.14:
	v_add_nc_u32_e32 v2, 0xc00, v30
	v_add_nc_u32_e32 v3, 0x200, v30
	;; [unrolled: 1-line block ×3, first 2 shown]
	ds_read2_b32 v[12:13], v30 offset1:100
	ds_read_b32 v48, v30 offset:4000
	ds_read2_b32 v[18:19], v2 offset0:32 offset1:132
	v_add_nc_u32_e32 v2, 0x800, v30
	ds_read2_b32 v[20:21], v3 offset0:72 offset1:172
	ds_read2_b32 v[16:17], v4 offset0:144 offset1:244
	;; [unrolled: 1-line block ×3, first 2 shown]
	s_waitcnt lgkmcnt(5)
	v_lshrrev_b32_e32 v38, 16, v12
	s_waitcnt lgkmcnt(4)
	v_lshrrev_b32_e32 v49, 16, v48
	v_lshrrev_b32_e32 v44, 16, v13
	s_waitcnt lgkmcnt(3)
	v_lshrrev_b32_e32 v43, 16, v18
	;; [unrolled: 3-line block ×5, first 2 shown]
	v_lshrrev_b32_e32 v42, 16, v15
.LBB0_15:
	s_or_b32 exec_lo, exec_lo, s1
	v_sub_nc_u32_e32 v36, 0, v11
	v_sub_nc_u32_e32 v37, 0, v0
	;; [unrolled: 1-line block ×3, first 2 shown]
	s_barrier
	buffer_gl0_inv
	s_and_saveexec_b32 s1, s0
	s_cbranch_execz .LBB0_17
; %bb.16:
	v_and_b32_e32 v50, 3, v25
	v_lshrrev_b32_e32 v51, 2, v25
	v_mul_u32_u24_e32 v0, 10, v50
	v_mul_u32_u24_e32 v51, 44, v51
	v_lshlrev_b32_e32 v0, 2, v0
	v_or_b32_e32 v50, v51, v50
	s_clause 0x2
	global_load_dwordx4 v[4:7], v0, s[8:9] offset:8
	global_load_dwordx2 v[22:23], v0, s[8:9] offset:40
	global_load_dwordx4 v[0:3], v0, s[8:9] offset:24
	v_lshl_add_u32 v50, v50, 2, 0
	s_waitcnt vmcnt(2)
	v_mul_f16_sdwa v51, v44, v4 dst_sel:DWORD dst_unused:UNUSED_PAD src0_sel:DWORD src1_sel:WORD_1
	s_waitcnt vmcnt(1)
	v_mul_f16_sdwa v53, v48, v23 dst_sel:DWORD dst_unused:UNUSED_PAD src0_sel:DWORD src1_sel:WORD_1
	v_mul_f16_sdwa v54, v13, v4 dst_sel:DWORD dst_unused:UNUSED_PAD src0_sel:DWORD src1_sel:WORD_1
	;; [unrolled: 1-line block ×8, first 2 shown]
	s_waitcnt vmcnt(0)
	v_mul_f16_sdwa v64, v42, v2 dst_sel:DWORD dst_unused:UNUSED_PAD src0_sel:DWORD src1_sel:WORD_1
	v_fmac_f16_e32 v51, v13, v4
	v_fma_f16 v13, v49, v23, -v53
	v_fma_f16 v4, v44, v4, -v54
	v_mul_f16_sdwa v60, v43, v3 dst_sel:DWORD dst_unused:UNUSED_PAD src0_sel:DWORD src1_sel:WORD_1
	v_mul_f16_sdwa v61, v18, v3 dst_sel:DWORD dst_unused:UNUSED_PAD src0_sel:DWORD src1_sel:WORD_1
	;; [unrolled: 1-line block ×5, first 2 shown]
	v_fmac_f16_e32 v52, v48, v23
	v_fmac_f16_e32 v55, v20, v5
	;; [unrolled: 1-line block ×3, first 2 shown]
	v_fma_f16 v19, v39, v22, -v57
	v_fma_f16 v5, v47, v5, -v58
	v_fmac_f16_e32 v59, v21, v6
	v_fmac_f16_e32 v64, v15, v2
	v_add_f16_e32 v15, v4, v13
	v_sub_f16_e32 v21, v4, v13
	v_add_f16_e32 v23, v12, v51
	v_add_f16_e32 v4, v38, v4
	v_mul_f16_sdwa v63, v45, v7 dst_sel:DWORD dst_unused:UNUSED_PAD src0_sel:DWORD src1_sel:WORD_1
	v_mul_f16_sdwa v66, v16, v7 dst_sel:DWORD dst_unused:UNUSED_PAD src0_sel:DWORD src1_sel:WORD_1
	;; [unrolled: 1-line block ×5, first 2 shown]
	v_fmac_f16_e32 v60, v18, v3
	v_fma_f16 v3, v43, v3, -v61
	v_fma_f16 v6, v41, v6, -v62
	v_fmac_f16_e32 v67, v17, v0
	v_add_f16_e32 v17, v5, v19
	v_sub_f16_e32 v43, v5, v19
	v_add_f16_e32 v4, v4, v5
	v_add_f16_e32 v5, v23, v55
	v_fmac_f16_e32 v63, v16, v7
	v_fma_f16 v2, v42, v2, -v65
	v_fma_f16 v7, v45, v7, -v66
	v_fmac_f16_e32 v68, v14, v1
	v_fma_f16 v1, v46, v1, -v69
	v_fma_f16 v0, v40, v0, -v70
	v_sub_f16_e32 v14, v51, v52
	v_sub_f16_e32 v16, v55, v56
	v_add_f16_e32 v4, v4, v6
	v_add_f16_e32 v5, v5, v59
	v_sub_f16_e32 v18, v59, v60
	v_add_f16_e32 v20, v6, v3
	v_add_f16_e32 v22, v51, v52
	v_sub_f16_e32 v39, v63, v64
	v_add_f16_e32 v40, v7, v2
	v_sub_f16_e32 v41, v67, v68
	;; [unrolled: 2-line block ×3, first 2 shown]
	v_sub_f16_e32 v47, v7, v2
	v_sub_f16_e32 v49, v0, v1
	v_mul_f16_e32 v53, 0xbb47, v14
	v_mul_f16_e32 v54, 0xba0c, v16
	;; [unrolled: 1-line block ×14, first 2 shown]
	v_add_f16_e32 v5, v5, v63
	v_add_f16_e32 v4, v4, v7
	v_add_f16_e32 v44, v55, v56
	v_add_f16_e32 v46, v59, v60
	v_add_f16_e32 v48, v63, v64
	v_add_f16_e32 v51, v67, v68
	v_mul_f16_e32 v62, 0x3b47, v18
	v_mul_f16_e32 v70, 0xb853, v18
	;; [unrolled: 1-line block ×36, first 2 shown]
	v_fmamk_f16 v104, v15, 0x36a6, v53
	v_fmamk_f16 v105, v17, 0xb93d, v54
	v_fma_f16 v106, v22, 0x36a6, -v57
	v_fmamk_f16 v107, v15, 0xb08e, v58
	v_fmamk_f16 v108, v17, 0xbbad, v61
	v_fma_f16 v109, v22, 0xb08e, -v65
	v_fmamk_f16 v110, v15, 0xb93d, v66
	v_fma_f16 v111, v22, 0xb93d, -v71
	v_fma_f16 v112, v22, 0xbbad, -v75
	v_fmac_f16_e32 v75, 0xbbad, v22
	v_fmac_f16_e32 v71, 0xb93d, v22
	v_fmac_f16_e32 v65, 0xb08e, v22
	v_fmac_f16_e32 v57, 0x36a6, v22
	v_fmamk_f16 v113, v22, 0x3abb, v21
	v_fma_f16 v21, v22, 0x3abb, -v21
	v_fmamk_f16 v22, v17, 0xb08e, v69
	v_fmamk_f16 v115, v15, 0xbbad, v72
	v_fma_f16 v72, v15, 0xbbad, -v72
	v_fma_f16 v66, v15, 0xb93d, -v66
	;; [unrolled: 1-line block ×4, first 2 shown]
	v_fmamk_f16 v53, v17, 0x3abb, v73
	v_fma_f16 v73, v17, 0x3abb, -v73
	v_fma_f16 v69, v17, 0xb08e, -v69
	;; [unrolled: 1-line block ×4, first 2 shown]
	v_fmamk_f16 v54, v14, 0x3853, v76
	v_add_f16_e32 v5, v5, v67
	v_add_f16_e32 v0, v4, v0
	v_fmamk_f16 v114, v20, 0x3abb, v70
	v_fmac_f16_e32 v76, 0xb853, v14
	v_fmamk_f16 v14, v16, 0x3b47, v77
	v_fmac_f16_e32 v77, 0xbb47, v16
	v_fmamk_f16 v16, v20, 0xb93d, v74
	v_fma_f16 v74, v20, 0xb93d, -v74
	v_fma_f16 v70, v20, 0x3abb, -v70
	v_fmamk_f16 v116, v20, 0x36a6, v62
	v_fma_f16 v62, v20, 0x36a6, -v62
	v_fmamk_f16 v117, v20, 0xbbad, v78
	;; [unrolled: 2-line block ×3, first 2 shown]
	v_fmac_f16_e32 v79, 0xbbeb, v18
	v_fmamk_f16 v18, v40, 0x36a6, v80
	v_fma_f16 v80, v40, 0x36a6, -v80
	v_fmamk_f16 v118, v40, 0xbbad, v81
	v_fma_f16 v81, v40, 0xbbad, -v81
	;; [unrolled: 2-line block ×4, first 2 shown]
	v_fmamk_f16 v83, v39, 0x3a0c, v84
	v_fmac_f16_e32 v84, 0xba0c, v39
	v_fmamk_f16 v39, v42, 0xb08e, v85
	v_fma_f16 v85, v42, 0xb08e, -v85
	v_fmamk_f16 v121, v42, 0x36a6, v86
	v_fma_f16 v86, v42, 0x36a6, -v86
	;; [unrolled: 2-line block ×4, first 2 shown]
	v_fmamk_f16 v88, v41, 0x3482, v89
	v_fmac_f16_e32 v89, 0xb482, v41
	v_fma_f16 v41, v44, 0x3abb, -v23
	v_fmac_f16_e32 v23, 0x3abb, v44
	v_fma_f16 v124, v44, 0xb08e, -v90
	;; [unrolled: 2-line block ×4, first 2 shown]
	v_fmac_f16_e32 v55, 0xb93d, v44
	v_fmamk_f16 v127, v44, 0x36a6, v43
	v_fma_f16 v43, v44, 0x36a6, -v43
	v_fma_f16 v6, v46, 0xb93d, -v92
	v_fmac_f16_e32 v92, 0xb93d, v46
	v_fma_f16 v44, v46, 0x3abb, -v94
	v_fmac_f16_e32 v94, 0x3abb, v46
	v_fma_f16 v59, v46, 0x36a6, -v95
	v_fmac_f16_e32 v95, 0x36a6, v46
	v_fma_f16 v128, v46, 0xbbad, -v93
	v_fmac_f16_e32 v93, 0xbbad, v46
	v_fmamk_f16 v129, v46, 0xb08e, v45
	v_fma_f16 v45, v46, 0xb08e, -v45
	v_fma_f16 v46, v48, 0x36a6, -v99
	v_fmac_f16_e32 v99, 0x36a6, v48
	v_fma_f16 v130, v48, 0xbbad, -v98
	v_fmac_f16_e32 v98, 0xbbad, v48
	v_fma_f16 v131, v48, 0x3abb, -v97
	v_fmac_f16_e32 v97, 0x3abb, v48
	v_fma_f16 v132, v48, 0xb08e, -v96
	;; [unrolled: 10-line block ×3, first 2 shown]
	v_fmac_f16_e32 v100, 0x3abb, v51
	v_fmamk_f16 v137, v51, 0xbbad, v49
	v_fma_f16 v49, v51, 0xbbad, -v49
	v_add_f16_e32 v51, v12, v106
	v_add_f16_e32 v106, v12, v109
	;; [unrolled: 1-line block ×110, first 2 shown]
	v_pack_b32_f16 v3, v3, v14
	v_pack_b32_f16 v14, v17, v15
	v_pack_b32_f16 v15, v43, v41
	v_pack_b32_f16 v17, v40, v39
	v_pack_b32_f16 v18, v23, v18
	v_pack_b32_f16 v6, v6, v16
	v_pack_b32_f16 v13, v38, v22
	v_pack_b32_f16 v12, v21, v12
	v_pack_b32_f16 v4, v7, v4
	v_pack_b32_f16 v0, v5, v0
	v_pack_b32_f16 v1, v2, v1
	ds_write2_b32 v50, v14, v15 offset0:8 offset1:12
	ds_write2_b32 v50, v17, v18 offset0:16 offset1:20
	;; [unrolled: 1-line block ×4, first 2 shown]
	ds_write2_b32 v50, v0, v3 offset1:4
	ds_write_b32 v50, v1 offset:160
.LBB0_17:
	s_or_b32 exec_lo, exec_lo, s1
	v_and_b32_e32 v0, 0xff, v25
	v_and_b32_e32 v1, 0xff, v31
	s_waitcnt lgkmcnt(0)
	s_barrier
	buffer_gl0_inv
	v_mul_lo_u16 v0, 0xbb, v0
	v_add_nc_u32_e32 v4, 0x500, v30
	v_add_nc_u32_e32 v3, 0xa00, v30
	;; [unrolled: 1-line block ×3, first 2 shown]
	ds_read_b32 v41, v30
	v_lshrrev_b16 v38, 13, v0
	v_mul_lo_u16 v0, 0xbb, v1
	v_mul_lo_u16 v1, v38, 44
	v_lshrrev_b16 v39, 13, v0
	v_mov_b32_e32 v0, 4
	v_sub_nc_u16 v40, v25, v1
	v_mul_lo_u16 v1, v39, 44
	v_lshlrev_b32_sdwa v2, v0, v40 dst_sel:DWORD dst_unused:UNUSED_PAD src0_sel:DWORD src1_sel:BYTE_0
	v_sub_nc_u16 v31, v31, v1
	v_add_nc_u32_e32 v1, v34, v35
	v_mov_b32_e32 v35, 0x370
	global_load_dwordx4 v[12:15], v2, s[8:9] offset:168
	v_lshlrev_b32_sdwa v0, v0, v31 dst_sel:DWORD dst_unused:UNUSED_PAD src0_sel:DWORD src1_sel:BYTE_0
	global_load_dwordx4 v[16:19], v0, s[8:9] offset:168
	v_add_nc_u32_e32 v2, v32, v36
	v_add_nc_u32_e32 v0, v33, v37
	v_mov_b32_e32 v36, 2
	ds_read_b32 v32, v2
	ds_read2_b32 v[6:7], v4 offset0:10 offset1:230
	ds_read2_b32 v[20:21], v3 offset0:20 offset1:130
	;; [unrolled: 1-line block ×3, first 2 shown]
	ds_read_b32 v33, v0
	ds_read_b32 v34, v1
	v_mul_u32_u24_sdwa v37, v38, v35 dst_sel:DWORD dst_unused:UNUSED_PAD src0_sel:WORD_0 src1_sel:DWORD
	v_mul_u32_u24_sdwa v35, v39, v35 dst_sel:DWORD dst_unused:UNUSED_PAD src0_sel:WORD_0 src1_sel:DWORD
	v_lshlrev_b32_sdwa v40, v36, v40 dst_sel:DWORD dst_unused:UNUSED_PAD src0_sel:DWORD src1_sel:BYTE_0
	v_lshlrev_b32_sdwa v31, v36, v31 dst_sel:DWORD dst_unused:UNUSED_PAD src0_sel:DWORD src1_sel:BYTE_0
	s_waitcnt lgkmcnt(6)
	v_lshrrev_b32_e32 v38, 16, v41
	s_waitcnt vmcnt(0) lgkmcnt(0)
	s_barrier
	v_add3_u32 v37, 0, v37, v40
	v_add3_u32 v31, 0, v35, v31
	buffer_gl0_inv
	v_lshrrev_b32_e32 v39, 16, v32
	v_lshrrev_b32_e32 v42, 16, v7
	v_lshrrev_b32_e32 v47, 16, v20
	v_lshrrev_b32_e32 v48, 16, v22
	v_lshrrev_b32_e32 v45, 16, v33
	v_lshrrev_b32_e32 v46, 16, v34
	v_lshrrev_b32_e32 v43, 16, v21
	v_lshrrev_b32_e32 v36, 16, v6
	v_lshrrev_b32_e32 v44, 16, v23
	v_mul_f16_sdwa v35, v12, v45 dst_sel:DWORD dst_unused:UNUSED_PAD src0_sel:WORD_1 src1_sel:DWORD
	v_mul_f16_sdwa v40, v12, v33 dst_sel:DWORD dst_unused:UNUSED_PAD src0_sel:WORD_1 src1_sel:DWORD
	;; [unrolled: 1-line block ×10, first 2 shown]
	v_mul_f16_sdwa v57, v42, v17 dst_sel:DWORD dst_unused:UNUSED_PAD src0_sel:DWORD src1_sel:WORD_1
	v_mul_f16_sdwa v58, v7, v17 dst_sel:DWORD dst_unused:UNUSED_PAD src0_sel:DWORD src1_sel:WORD_1
	;; [unrolled: 1-line block ×6, first 2 shown]
	v_fmac_f16_e32 v35, v12, v33
	v_fma_f16 v12, v12, v45, -v40
	v_fmac_f16_e32 v49, v13, v34
	v_fma_f16 v13, v13, v46, -v50
	;; [unrolled: 2-line block ×8, first 2 shown]
	v_add_f16_e32 v19, v49, v51
	v_add_f16_e32 v33, v35, v53
	;; [unrolled: 1-line block ×5, first 2 shown]
	v_sub_f16_e32 v22, v35, v49
	v_sub_f16_e32 v23, v53, v51
	;; [unrolled: 1-line block ×6, first 2 shown]
	v_add_f16_e32 v50, v57, v59
	v_add_f16_e32 v64, v39, v6
	;; [unrolled: 1-line block ×6, first 2 shown]
	v_sub_f16_e32 v20, v12, v15
	v_sub_f16_e32 v21, v13, v14
	;; [unrolled: 1-line block ×5, first 2 shown]
	v_fma_f16 v19, -0.5, v19, v41
	v_fmac_f16_e32 v41, -0.5, v33
	v_add_f16_e32 v13, v40, v13
	v_fma_f16 v33, -0.5, v42, v38
	v_sub_f16_e32 v43, v49, v51
	v_add_f16_e32 v48, v32, v55
	v_fmac_f16_e32 v38, -0.5, v46
	v_sub_f16_e32 v52, v6, v17
	v_sub_f16_e32 v54, v7, v16
	;; [unrolled: 1-line block ×7, first 2 shown]
	v_add_f16_e32 v22, v22, v23
	v_add_f16_e32 v23, v34, v36
	;; [unrolled: 1-line block ×3, first 2 shown]
	v_fma_f16 v40, -0.5, v50, v32
	v_add_f16_e32 v7, v64, v7
	v_fma_f16 v45, -0.5, v65, v39
	v_sub_f16_e32 v58, v61, v59
	v_sub_f16_e32 v66, v57, v59
	v_add_f16_e32 v18, v18, v49
	v_fmac_f16_e32 v32, -0.5, v60
	v_fmac_f16_e32 v39, -0.5, v69
	v_add_f16_e32 v12, v12, v47
	v_fmamk_f16 v47, v20, 0xbb9c, v19
	v_add_f16_e32 v13, v13, v14
	v_fmamk_f16 v14, v35, 0x3b9c, v33
	;; [unrolled: 2-line block ×3, first 2 shown]
	v_fmac_f16_e32 v41, 0xbb9c, v21
	v_fmamk_f16 v49, v43, 0xbb9c, v38
	v_fmac_f16_e32 v38, 0x3b9c, v43
	v_fmac_f16_e32 v19, 0x3b9c, v20
	;; [unrolled: 1-line block ×3, first 2 shown]
	v_sub_f16_e32 v68, v17, v16
	v_sub_f16_e32 v70, v16, v17
	v_fmamk_f16 v50, v52, 0xbb9c, v40
	v_add_f16_e32 v7, v7, v16
	v_fmamk_f16 v16, v55, 0x3b9c, v45
	v_sub_f16_e32 v63, v59, v61
	v_add_f16_e32 v42, v56, v58
	v_add_f16_e32 v18, v18, v51
	v_fmamk_f16 v51, v54, 0x3b9c, v32
	v_fmac_f16_e32 v32, 0xbb9c, v54
	v_fmamk_f16 v56, v66, 0xbb9c, v39
	v_fmac_f16_e32 v39, 0x3b9c, v66
	v_fmac_f16_e32 v40, 0x3b9c, v52
	;; [unrolled: 1-line block ×9, first 2 shown]
	v_add_f16_e32 v36, v36, v59
	v_fmac_f16_e32 v19, 0x38b4, v21
	v_fmac_f16_e32 v33, 0xb8b4, v43
	v_add_f16_e32 v46, v67, v68
	v_fmac_f16_e32 v50, 0xb8b4, v54
	v_fmac_f16_e32 v16, 0x38b4, v66
	v_add_f16_e32 v44, v62, v63
	v_add_f16_e32 v6, v6, v70
	v_fmac_f16_e32 v51, 0xb8b4, v52
	v_fmac_f16_e32 v32, 0x38b4, v52
	;; [unrolled: 1-line block ×4, first 2 shown]
	v_add_f16_e32 v18, v18, v53
	v_add_f16_e32 v13, v13, v15
	v_fmac_f16_e32 v40, 0x38b4, v54
	v_fmac_f16_e32 v45, 0xb8b4, v66
	v_fmac_f16_e32 v47, 0x34f2, v22
	v_fmac_f16_e32 v14, 0x34f2, v34
	v_fmac_f16_e32 v48, 0x34f2, v23
	v_fmac_f16_e32 v41, 0x34f2, v23
	v_fmac_f16_e32 v49, 0x34f2, v12
	v_fmac_f16_e32 v38, 0x34f2, v12
	v_add_f16_e32 v15, v36, v61
	v_add_f16_e32 v7, v7, v17
	v_fmac_f16_e32 v19, 0x34f2, v22
	v_fmac_f16_e32 v33, 0x34f2, v34
	;; [unrolled: 1-line block ×10, first 2 shown]
	v_pack_b32_f16 v6, v18, v13
	v_pack_b32_f16 v12, v47, v14
	;; [unrolled: 1-line block ×10, first 2 shown]
	ds_write2_b32 v37, v6, v12 offset1:44
	ds_write2_b32 v37, v13, v14 offset0:88 offset1:132
	ds_write_b32 v37, v15 offset:704
	ds_write2_b32 v31, v7, v16 offset1:44
	ds_write2_b32 v31, v17, v18 offset0:88 offset1:132
	ds_write_b32 v31, v19 offset:704
	s_waitcnt lgkmcnt(0)
	s_barrier
	buffer_gl0_inv
	s_and_saveexec_b32 s0, vcc_lo
	s_cbranch_execz .LBB0_19
; %bb.18:
	v_mov_b32_e32 v12, 0
	v_lshrrev_b32_e32 v32, 2, v24
	v_mad_u64_u32 v[20:21], null, s2, v27, 0
	v_mad_u64_u32 v[22:23], null, s2, v28, 0
	v_lshlrev_b64 v[6:7], 2, v[11:12]
	v_mov_b32_e32 v11, v12
	v_mul_hi_u32 v33, 0x94f2095, v32
	v_add_co_u32 v6, vcc_lo, s8, v6
	v_add_co_ci_u32_e32 v7, vcc_lo, s9, v7, vcc_lo
	global_load_dwordx4 v[12:15], v[6:7], off offset:872
	v_lshlrev_b64 v[6:7], 2, v[10:11]
	v_add_co_u32 v6, vcc_lo, s8, v6
	v_add_co_ci_u32_e32 v7, vcc_lo, s9, v7, vcc_lo
	v_add_co_u32 v44, vcc_lo, s12, v8
	v_mov_b32_e32 v8, v21
	global_load_dwordx4 v[16:19], v[6:7], off offset:872
	ds_read2_b32 v[6:7], v4 offset0:10 offset1:230
	ds_read2_b32 v[4:5], v5 offset0:112 offset1:222
	;; [unrolled: 1-line block ×3, first 2 shown]
	ds_read_b32 v40, v0
	ds_read_b32 v41, v2
	;; [unrolled: 1-line block ×4, first 2 shown]
	v_mad_u64_u32 v[0:1], null, s2, v25, 0
	v_mad_u64_u32 v[2:3], null, s2, v26, 0
	;; [unrolled: 1-line block ×3, first 2 shown]
	v_add_co_ci_u32_e32 v45, vcc_lo, s13, v9, vcc_lo
	v_mov_b32_e32 v9, v23
	v_mov_b32_e32 v21, v31
	v_mad_u64_u32 v[31:32], null, s3, v25, v[1:2]
	v_lshrrev_b32_e32 v1, 1, v33
	s_waitcnt lgkmcnt(5)
	v_mad_u64_u32 v[25:26], null, s3, v26, v[3:4]
	v_mad_u64_u32 v[26:27], null, s3, v27, v[8:9]
	v_mad_u32_u24 v34, 0x370, v1, v24
	s_waitcnt lgkmcnt(4)
	v_mad_u64_u32 v[8:9], null, s3, v28, v[9:10]
	v_mad_u64_u32 v[27:28], null, s3, v29, v[21:22]
	v_add_nc_u32_e32 v36, 0xdc, v34
	v_add_nc_u32_e32 v37, 0x1b8, v34
	v_mov_b32_e32 v1, v31
	v_mov_b32_e32 v21, v26
	;; [unrolled: 1-line block ×3, first 2 shown]
	v_mad_u64_u32 v[8:9], null, s2, v34, 0
	v_mov_b32_e32 v31, v27
	v_mad_u64_u32 v[26:27], null, s2, v36, 0
	v_add_nc_u32_e32 v38, 0x294, v34
	v_mad_u64_u32 v[28:29], null, s2, v37, 0
	v_add_nc_u32_e32 v39, 0x370, v34
	v_mov_b32_e32 v3, v25
	v_lshlrev_b64 v[24:25], 2, v[30:31]
	v_mad_u64_u32 v[30:31], null, s2, v38, 0
	v_lshlrev_b64 v[0:1], 2, v[0:1]
	v_mad_u64_u32 v[34:35], null, s3, v34, v[9:10]
	v_mov_b32_e32 v9, v27
	v_mad_u64_u32 v[32:33], null, s2, v39, 0
	v_lshlrev_b64 v[2:3], 2, v[2:3]
	v_mov_b32_e32 v27, v29
	v_mad_u64_u32 v[35:36], null, s3, v36, v[9:10]
	v_lshlrev_b64 v[20:21], 2, v[20:21]
	v_add_co_u32 v0, vcc_lo, v44, v0
	v_mov_b32_e32 v29, v31
	v_add_co_ci_u32_e32 v1, vcc_lo, v45, v1, vcc_lo
	v_mad_u64_u32 v[36:37], null, s3, v37, v[27:28]
	v_lshlrev_b64 v[22:23], 2, v[22:23]
	v_add_co_u32 v2, vcc_lo, v44, v2
	v_mov_b32_e32 v31, v33
	v_mov_b32_e32 v9, v34
	v_add_co_ci_u32_e32 v3, vcc_lo, v45, v3, vcc_lo
	v_mad_u64_u32 v[37:38], null, s3, v38, v[29:30]
	v_add_co_u32 v20, vcc_lo, v44, v20
	v_mov_b32_e32 v27, v35
	v_add_co_ci_u32_e32 v21, vcc_lo, v45, v21, vcc_lo
	v_mad_u64_u32 v[38:39], null, s3, v39, v[31:32]
	v_add_co_u32 v22, vcc_lo, v44, v22
	v_lshlrev_b64 v[8:9], 2, v[8:9]
	v_mov_b32_e32 v29, v36
	v_add_co_ci_u32_e32 v23, vcc_lo, v45, v23, vcc_lo
	v_add_co_u32 v24, vcc_lo, v44, v24
	v_lshlrev_b64 v[26:27], 2, v[26:27]
	v_mov_b32_e32 v31, v37
	v_add_co_ci_u32_e32 v25, vcc_lo, v45, v25, vcc_lo
	v_lshlrev_b64 v[28:29], 2, v[28:29]
	v_add_co_u32 v8, vcc_lo, v44, v8
	v_mov_b32_e32 v33, v38
	v_add_co_ci_u32_e32 v9, vcc_lo, v45, v9, vcc_lo
	v_lshlrev_b64 v[30:31], 2, v[30:31]
	v_add_co_u32 v26, vcc_lo, v44, v26
	v_add_co_ci_u32_e32 v27, vcc_lo, v45, v27, vcc_lo
	v_lshlrev_b64 v[32:33], 2, v[32:33]
	v_add_co_u32 v28, vcc_lo, v44, v28
	v_add_co_ci_u32_e32 v29, vcc_lo, v45, v29, vcc_lo
	v_lshrrev_b32_e32 v46, 16, v6
	v_add_co_u32 v30, vcc_lo, v44, v30
	v_add_co_ci_u32_e32 v31, vcc_lo, v45, v31, vcc_lo
	v_add_co_u32 v32, vcc_lo, v44, v32
	v_lshrrev_b32_e32 v47, 16, v7
	v_lshrrev_b32_e32 v48, 16, v5
	;; [unrolled: 1-line block ×3, first 2 shown]
	s_waitcnt lgkmcnt(3)
	v_lshrrev_b32_e32 v51, 16, v40
	s_waitcnt lgkmcnt(1)
	v_lshrrev_b32_e32 v52, 16, v42
	v_lshrrev_b32_e32 v53, 16, v4
	;; [unrolled: 1-line block ×3, first 2 shown]
	v_add_co_ci_u32_e32 v33, vcc_lo, v45, v33, vcc_lo
	v_lshrrev_b32_e32 v50, 16, v41
	s_waitcnt lgkmcnt(0)
	v_lshrrev_b32_e32 v55, 16, v43
	s_waitcnt vmcnt(1)
	v_lshrrev_b32_e32 v34, 16, v13
	v_lshrrev_b32_e32 v35, 16, v14
	;; [unrolled: 1-line block ×3, first 2 shown]
	v_mul_f16_sdwa v37, v12, v6 dst_sel:DWORD dst_unused:UNUSED_PAD src0_sel:WORD_1 src1_sel:DWORD
	v_mul_f16_sdwa v38, v12, v46 dst_sel:DWORD dst_unused:UNUSED_PAD src0_sel:WORD_1 src1_sel:DWORD
	v_mul_f16_e32 v39, v15, v5
	v_mul_f16_e32 v44, v13, v7
	;; [unrolled: 1-line block ×3, first 2 shown]
	v_fma_f16 v37, v12, v46, -v37
	v_mul_f16_e32 v7, v34, v7
	v_mul_f16_e32 v5, v36, v5
	;; [unrolled: 1-line block ×3, first 2 shown]
	v_fmac_f16_e32 v38, v12, v6
	v_fmac_f16_e32 v39, v48, v36
	;; [unrolled: 1-line block ×4, first 2 shown]
	s_waitcnt vmcnt(0)
	v_mul_f16_sdwa v6, v16, v40 dst_sel:DWORD dst_unused:UNUSED_PAD src0_sel:WORD_1 src1_sel:DWORD
	v_mul_f16_sdwa v12, v17, v42 dst_sel:DWORD dst_unused:UNUSED_PAD src0_sel:WORD_1 src1_sel:DWORD
	;; [unrolled: 1-line block ×8, first 2 shown]
	v_fma_f16 v7, v13, v47, -v7
	v_fma_f16 v5, v15, v48, -v5
	;; [unrolled: 1-line block ×3, first 2 shown]
	v_sub_f16_e32 v13, v38, v39
	v_sub_f16_e32 v15, v38, v44
	v_sub_f16_e32 v47, v39, v45
	v_add_f16_e32 v48, v44, v45
	v_sub_f16_e32 v49, v44, v38
	v_sub_f16_e32 v58, v45, v39
	v_add_f16_e32 v59, v38, v39
	v_add_f16_e32 v60, v37, v50
	;; [unrolled: 1-line block ×3, first 2 shown]
	v_fma_f16 v6, v16, v51, -v6
	v_fma_f16 v12, v17, v52, -v12
	;; [unrolled: 1-line block ×4, first 2 shown]
	v_fmac_f16_e32 v36, v16, v40
	v_fmac_f16_e32 v46, v19, v4
	;; [unrolled: 1-line block ×4, first 2 shown]
	v_sub_f16_e32 v14, v44, v45
	v_sub_f16_e32 v4, v37, v7
	;; [unrolled: 1-line block ×3, first 2 shown]
	v_add_f16_e32 v16, v7, v11
	v_add_f16_e32 v15, v15, v47
	v_fma_f16 v17, -0.5, v48, v41
	v_sub_f16_e32 v19, v7, v11
	v_sub_f16_e32 v40, v7, v37
	;; [unrolled: 1-line block ×3, first 2 shown]
	v_add_f16_e32 v47, v49, v58
	v_fma_f16 v41, -0.5, v59, v41
	v_add_f16_e32 v7, v7, v60
	v_add_f16_e32 v38, v44, v38
	v_sub_f16_e32 v44, v6, v12
	v_sub_f16_e32 v48, v34, v35
	v_add_f16_e32 v49, v12, v35
	v_sub_f16_e32 v51, v36, v46
	v_sub_f16_e32 v53, v36, v56
	;; [unrolled: 3-line block ×3, first 2 shown]
	v_add_f16_e32 v63, v6, v34
	v_sub_f16_e32 v64, v56, v36
	v_add_f16_e32 v66, v36, v46
	v_add_f16_e32 v6, v6, v55
	;; [unrolled: 1-line block ×3, first 2 shown]
	v_sub_f16_e32 v18, v37, v5
	v_add_f16_e32 v37, v37, v5
	v_sub_f16_e32 v60, v12, v35
	v_add_f16_e32 v4, v4, v10
	v_fma_f16 v10, -0.5, v16, v50
	v_add_f16_e32 v40, v40, v42
	v_fmamk_f16 v42, v19, 0xbb9c, v41
	v_fmac_f16_e32 v41, 0x3b9c, v19
	v_add_f16_e32 v7, v11, v7
	v_add_f16_e32 v11, v45, v38
	;; [unrolled: 1-line block ×3, first 2 shown]
	v_fma_f16 v44, -0.5, v49, v55
	v_fma_f16 v48, -0.5, v58, v43
	v_add_f16_e32 v6, v12, v6
	v_add_f16_e32 v12, v56, v36
	v_sub_f16_e32 v52, v56, v57
	v_fmamk_f16 v16, v18, 0x3b9c, v17
	v_fma_f16 v37, -0.5, v37, v50
	v_fmac_f16_e32 v17, 0xbb9c, v18
	v_fma_f16 v50, -0.5, v63, v55
	v_fma_f16 v43, -0.5, v66, v43
	v_sub_f16_e32 v54, v46, v57
	v_fmamk_f16 v36, v13, 0xbb9c, v10
	v_fmac_f16_e32 v42, 0x38b4, v18
	v_fmac_f16_e32 v41, 0xb8b4, v18
	;; [unrolled: 1-line block ×3, first 2 shown]
	v_add_f16_e32 v5, v5, v7
	v_add_f16_e32 v7, v39, v11
	v_fmamk_f16 v11, v51, 0xbb9c, v44
	v_fmamk_f16 v18, v59, 0x3b9c, v48
	v_fmac_f16_e32 v44, 0x3b9c, v51
	v_fmac_f16_e32 v48, 0xbb9c, v59
	v_add_f16_e32 v6, v6, v35
	v_add_f16_e32 v12, v12, v57
	v_sub_f16_e32 v62, v35, v34
	v_sub_f16_e32 v65, v57, v46
	v_fmac_f16_e32 v16, 0x38b4, v19
	v_fmac_f16_e32 v17, 0xb8b4, v19
	v_fmamk_f16 v19, v52, 0x3b9c, v50
	v_fmamk_f16 v39, v60, 0xbb9c, v43
	v_fmac_f16_e32 v50, 0xbb9c, v52
	v_fmac_f16_e32 v43, 0x3b9c, v60
	v_add_f16_e32 v45, v53, v54
	v_fmamk_f16 v54, v14, 0x3b9c, v37
	v_fmac_f16_e32 v37, 0xbb9c, v14
	v_fmac_f16_e32 v36, 0xb8b4, v14
	;; [unrolled: 1-line block ×5, first 2 shown]
	v_add_f16_e32 v6, v34, v6
	v_add_f16_e32 v12, v46, v12
	;; [unrolled: 1-line block ×4, first 2 shown]
	v_fmac_f16_e32 v50, 0x38b4, v51
	v_fmac_f16_e32 v43, 0xb8b4, v59
	;; [unrolled: 1-line block ×11, first 2 shown]
	v_pack_b32_f16 v4, v12, v6
	v_fmac_f16_e32 v48, 0x34f2, v45
	v_fmac_f16_e32 v50, 0x34f2, v49
	;; [unrolled: 1-line block ×13, first 2 shown]
	global_store_dword v[0:1], v4, off
	v_pack_b32_f16 v0, v48, v44
	v_pack_b32_f16 v1, v43, v50
	;; [unrolled: 1-line block ×9, first 2 shown]
	global_store_dword v[2:3], v0, off
	global_store_dword v[20:21], v1, off
	global_store_dword v[22:23], v4, off
	global_store_dword v[24:25], v6, off
	global_store_dword v[8:9], v5, off
	global_store_dword v[26:27], v7, off
	global_store_dword v[28:29], v10, off
	global_store_dword v[30:31], v11, off
	global_store_dword v[32:33], v12, off
.LBB0_19:
	s_endpgm
	.section	.rodata,"a",@progbits
	.p2align	6, 0x0
	.amdhsa_kernel fft_rtc_back_len1100_factors_2_2_11_5_5_wgs_110_tpt_110_half_ip_CI_sbrr_dirReg
		.amdhsa_group_segment_fixed_size 0
		.amdhsa_private_segment_fixed_size 0
		.amdhsa_kernarg_size 88
		.amdhsa_user_sgpr_count 6
		.amdhsa_user_sgpr_private_segment_buffer 1
		.amdhsa_user_sgpr_dispatch_ptr 0
		.amdhsa_user_sgpr_queue_ptr 0
		.amdhsa_user_sgpr_kernarg_segment_ptr 1
		.amdhsa_user_sgpr_dispatch_id 0
		.amdhsa_user_sgpr_flat_scratch_init 0
		.amdhsa_user_sgpr_private_segment_size 0
		.amdhsa_wavefront_size32 1
		.amdhsa_uses_dynamic_stack 0
		.amdhsa_system_sgpr_private_segment_wavefront_offset 0
		.amdhsa_system_sgpr_workgroup_id_x 1
		.amdhsa_system_sgpr_workgroup_id_y 0
		.amdhsa_system_sgpr_workgroup_id_z 0
		.amdhsa_system_sgpr_workgroup_info 0
		.amdhsa_system_vgpr_workitem_id 0
		.amdhsa_next_free_vgpr 138
		.amdhsa_next_free_sgpr 23
		.amdhsa_reserve_vcc 1
		.amdhsa_reserve_flat_scratch 0
		.amdhsa_float_round_mode_32 0
		.amdhsa_float_round_mode_16_64 0
		.amdhsa_float_denorm_mode_32 3
		.amdhsa_float_denorm_mode_16_64 3
		.amdhsa_dx10_clamp 1
		.amdhsa_ieee_mode 1
		.amdhsa_fp16_overflow 0
		.amdhsa_workgroup_processor_mode 1
		.amdhsa_memory_ordered 1
		.amdhsa_forward_progress 0
		.amdhsa_shared_vgpr_count 0
		.amdhsa_exception_fp_ieee_invalid_op 0
		.amdhsa_exception_fp_denorm_src 0
		.amdhsa_exception_fp_ieee_div_zero 0
		.amdhsa_exception_fp_ieee_overflow 0
		.amdhsa_exception_fp_ieee_underflow 0
		.amdhsa_exception_fp_ieee_inexact 0
		.amdhsa_exception_int_div_zero 0
	.end_amdhsa_kernel
	.text
.Lfunc_end0:
	.size	fft_rtc_back_len1100_factors_2_2_11_5_5_wgs_110_tpt_110_half_ip_CI_sbrr_dirReg, .Lfunc_end0-fft_rtc_back_len1100_factors_2_2_11_5_5_wgs_110_tpt_110_half_ip_CI_sbrr_dirReg
                                        ; -- End function
	.section	.AMDGPU.csdata,"",@progbits
; Kernel info:
; codeLenInByte = 8508
; NumSgprs: 25
; NumVgprs: 138
; ScratchSize: 0
; MemoryBound: 0
; FloatMode: 240
; IeeeMode: 1
; LDSByteSize: 0 bytes/workgroup (compile time only)
; SGPRBlocks: 3
; VGPRBlocks: 17
; NumSGPRsForWavesPerEU: 25
; NumVGPRsForWavesPerEU: 138
; Occupancy: 7
; WaveLimiterHint : 1
; COMPUTE_PGM_RSRC2:SCRATCH_EN: 0
; COMPUTE_PGM_RSRC2:USER_SGPR: 6
; COMPUTE_PGM_RSRC2:TRAP_HANDLER: 0
; COMPUTE_PGM_RSRC2:TGID_X_EN: 1
; COMPUTE_PGM_RSRC2:TGID_Y_EN: 0
; COMPUTE_PGM_RSRC2:TGID_Z_EN: 0
; COMPUTE_PGM_RSRC2:TIDIG_COMP_CNT: 0
	.text
	.p2alignl 6, 3214868480
	.fill 48, 4, 3214868480
	.type	__hip_cuid_124828856d70b5aa,@object ; @__hip_cuid_124828856d70b5aa
	.section	.bss,"aw",@nobits
	.globl	__hip_cuid_124828856d70b5aa
__hip_cuid_124828856d70b5aa:
	.byte	0                               ; 0x0
	.size	__hip_cuid_124828856d70b5aa, 1

	.ident	"AMD clang version 19.0.0git (https://github.com/RadeonOpenCompute/llvm-project roc-6.4.0 25133 c7fe45cf4b819c5991fe208aaa96edf142730f1d)"
	.section	".note.GNU-stack","",@progbits
	.addrsig
	.addrsig_sym __hip_cuid_124828856d70b5aa
	.amdgpu_metadata
---
amdhsa.kernels:
  - .args:
      - .actual_access:  read_only
        .address_space:  global
        .offset:         0
        .size:           8
        .value_kind:     global_buffer
      - .offset:         8
        .size:           8
        .value_kind:     by_value
      - .actual_access:  read_only
        .address_space:  global
        .offset:         16
        .size:           8
        .value_kind:     global_buffer
      - .actual_access:  read_only
        .address_space:  global
        .offset:         24
        .size:           8
        .value_kind:     global_buffer
      - .offset:         32
        .size:           8
        .value_kind:     by_value
      - .actual_access:  read_only
        .address_space:  global
        .offset:         40
        .size:           8
        .value_kind:     global_buffer
      - .actual_access:  read_only
        .address_space:  global
        .offset:         48
        .size:           8
        .value_kind:     global_buffer
      - .offset:         56
        .size:           4
        .value_kind:     by_value
      - .actual_access:  read_only
        .address_space:  global
        .offset:         64
        .size:           8
        .value_kind:     global_buffer
      - .actual_access:  read_only
        .address_space:  global
        .offset:         72
        .size:           8
        .value_kind:     global_buffer
      - .address_space:  global
        .offset:         80
        .size:           8
        .value_kind:     global_buffer
    .group_segment_fixed_size: 0
    .kernarg_segment_align: 8
    .kernarg_segment_size: 88
    .language:       OpenCL C
    .language_version:
      - 2
      - 0
    .max_flat_workgroup_size: 110
    .name:           fft_rtc_back_len1100_factors_2_2_11_5_5_wgs_110_tpt_110_half_ip_CI_sbrr_dirReg
    .private_segment_fixed_size: 0
    .sgpr_count:     25
    .sgpr_spill_count: 0
    .symbol:         fft_rtc_back_len1100_factors_2_2_11_5_5_wgs_110_tpt_110_half_ip_CI_sbrr_dirReg.kd
    .uniform_work_group_size: 1
    .uses_dynamic_stack: false
    .vgpr_count:     138
    .vgpr_spill_count: 0
    .wavefront_size: 32
    .workgroup_processor_mode: 1
amdhsa.target:   amdgcn-amd-amdhsa--gfx1030
amdhsa.version:
  - 1
  - 2
...

	.end_amdgpu_metadata
